;; amdgpu-corpus repo=ROCm/rocFFT kind=compiled arch=gfx1201 opt=O3
	.text
	.amdgcn_target "amdgcn-amd-amdhsa--gfx1201"
	.amdhsa_code_object_version 6
	.protected	fft_rtc_fwd_len704_factors_2_2_2_2_11_2_2_wgs_176_tpt_88_halfLds_sp_ip_CI_unitstride_sbrr_C2R_dirReg ; -- Begin function fft_rtc_fwd_len704_factors_2_2_2_2_11_2_2_wgs_176_tpt_88_halfLds_sp_ip_CI_unitstride_sbrr_C2R_dirReg
	.globl	fft_rtc_fwd_len704_factors_2_2_2_2_11_2_2_wgs_176_tpt_88_halfLds_sp_ip_CI_unitstride_sbrr_C2R_dirReg
	.p2align	8
	.type	fft_rtc_fwd_len704_factors_2_2_2_2_11_2_2_wgs_176_tpt_88_halfLds_sp_ip_CI_unitstride_sbrr_C2R_dirReg,@function
fft_rtc_fwd_len704_factors_2_2_2_2_11_2_2_wgs_176_tpt_88_halfLds_sp_ip_CI_unitstride_sbrr_C2R_dirReg: ; @fft_rtc_fwd_len704_factors_2_2_2_2_11_2_2_wgs_176_tpt_88_halfLds_sp_ip_CI_unitstride_sbrr_C2R_dirReg
; %bb.0:
	s_clause 0x2
	s_load_b128 s[4:7], s[0:1], 0x0
	s_load_b64 s[8:9], s[0:1], 0x50
	s_load_b64 s[10:11], s[0:1], 0x18
	v_mul_u32_u24_e32 v1, 0x2e9, v0
	v_mov_b32_e32 v3, 0
	s_delay_alu instid0(VALU_DEP_2) | instskip(SKIP_2) | instid1(VALU_DEP_4)
	v_lshrrev_b32_e32 v9, 16, v1
	v_mov_b32_e32 v1, 0
	v_mov_b32_e32 v2, 0
	;; [unrolled: 1-line block ×3, first 2 shown]
	s_delay_alu instid0(VALU_DEP_4) | instskip(SKIP_2) | instid1(VALU_DEP_1)
	v_lshl_add_u32 v5, ttmp9, 1, v9
	s_wait_kmcnt 0x0
	v_cmp_lt_u64_e64 s2, s[6:7], 2
	s_and_b32 vcc_lo, exec_lo, s2
	s_cbranch_vccnz .LBB0_8
; %bb.1:
	s_load_b64 s[2:3], s[0:1], 0x10
	v_mov_b32_e32 v1, 0
	v_mov_b32_e32 v2, 0
	s_add_nc_u64 s[12:13], s[10:11], 8
	s_mov_b64 s[14:15], 1
	s_wait_kmcnt 0x0
	s_add_nc_u64 s[16:17], s[2:3], 8
	s_mov_b32 s3, 0
.LBB0_2:                                ; =>This Inner Loop Header: Depth=1
	s_load_b64 s[18:19], s[16:17], 0x0
                                        ; implicit-def: $vgpr7_vgpr8
	s_mov_b32 s2, exec_lo
	s_wait_kmcnt 0x0
	v_or_b32_e32 v4, s19, v6
	s_delay_alu instid0(VALU_DEP_1)
	v_cmpx_ne_u64_e32 0, v[3:4]
	s_wait_alu 0xfffe
	s_xor_b32 s20, exec_lo, s2
	s_cbranch_execz .LBB0_4
; %bb.3:                                ;   in Loop: Header=BB0_2 Depth=1
	s_cvt_f32_u32 s2, s18
	s_cvt_f32_u32 s21, s19
	s_sub_nc_u64 s[24:25], 0, s[18:19]
	s_wait_alu 0xfffe
	s_delay_alu instid0(SALU_CYCLE_1) | instskip(SKIP_1) | instid1(SALU_CYCLE_2)
	s_fmamk_f32 s2, s21, 0x4f800000, s2
	s_wait_alu 0xfffe
	v_s_rcp_f32 s2, s2
	s_delay_alu instid0(TRANS32_DEP_1) | instskip(SKIP_1) | instid1(SALU_CYCLE_2)
	s_mul_f32 s2, s2, 0x5f7ffffc
	s_wait_alu 0xfffe
	s_mul_f32 s21, s2, 0x2f800000
	s_wait_alu 0xfffe
	s_delay_alu instid0(SALU_CYCLE_2) | instskip(SKIP_1) | instid1(SALU_CYCLE_2)
	s_trunc_f32 s21, s21
	s_wait_alu 0xfffe
	s_fmamk_f32 s2, s21, 0xcf800000, s2
	s_cvt_u32_f32 s23, s21
	s_wait_alu 0xfffe
	s_delay_alu instid0(SALU_CYCLE_1) | instskip(SKIP_1) | instid1(SALU_CYCLE_2)
	s_cvt_u32_f32 s22, s2
	s_wait_alu 0xfffe
	s_mul_u64 s[26:27], s[24:25], s[22:23]
	s_wait_alu 0xfffe
	s_mul_hi_u32 s29, s22, s27
	s_mul_i32 s28, s22, s27
	s_mul_hi_u32 s2, s22, s26
	s_mul_i32 s30, s23, s26
	s_wait_alu 0xfffe
	s_add_nc_u64 s[28:29], s[2:3], s[28:29]
	s_mul_hi_u32 s21, s23, s26
	s_mul_hi_u32 s31, s23, s27
	s_add_co_u32 s2, s28, s30
	s_wait_alu 0xfffe
	s_add_co_ci_u32 s2, s29, s21
	s_mul_i32 s26, s23, s27
	s_add_co_ci_u32 s27, s31, 0
	s_wait_alu 0xfffe
	s_add_nc_u64 s[26:27], s[2:3], s[26:27]
	s_wait_alu 0xfffe
	v_add_co_u32 v4, s2, s22, s26
	s_delay_alu instid0(VALU_DEP_1) | instskip(SKIP_1) | instid1(VALU_DEP_1)
	s_cmp_lg_u32 s2, 0
	s_add_co_ci_u32 s23, s23, s27
	v_readfirstlane_b32 s22, v4
	s_wait_alu 0xfffe
	s_delay_alu instid0(VALU_DEP_1)
	s_mul_u64 s[24:25], s[24:25], s[22:23]
	s_wait_alu 0xfffe
	s_mul_hi_u32 s27, s22, s25
	s_mul_i32 s26, s22, s25
	s_mul_hi_u32 s2, s22, s24
	s_mul_i32 s28, s23, s24
	s_wait_alu 0xfffe
	s_add_nc_u64 s[26:27], s[2:3], s[26:27]
	s_mul_hi_u32 s21, s23, s24
	s_mul_hi_u32 s22, s23, s25
	s_wait_alu 0xfffe
	s_add_co_u32 s2, s26, s28
	s_add_co_ci_u32 s2, s27, s21
	s_mul_i32 s24, s23, s25
	s_add_co_ci_u32 s25, s22, 0
	s_wait_alu 0xfffe
	s_add_nc_u64 s[24:25], s[2:3], s[24:25]
	s_wait_alu 0xfffe
	v_add_co_u32 v4, s2, v4, s24
	s_delay_alu instid0(VALU_DEP_1) | instskip(SKIP_1) | instid1(VALU_DEP_1)
	s_cmp_lg_u32 s2, 0
	s_add_co_ci_u32 s2, s23, s25
	v_mul_hi_u32 v14, v5, v4
	s_wait_alu 0xfffe
	v_mad_co_u64_u32 v[7:8], null, v5, s2, 0
	v_mad_co_u64_u32 v[10:11], null, v6, v4, 0
	;; [unrolled: 1-line block ×3, first 2 shown]
	s_delay_alu instid0(VALU_DEP_3) | instskip(SKIP_1) | instid1(VALU_DEP_4)
	v_add_co_u32 v4, vcc_lo, v14, v7
	s_wait_alu 0xfffd
	v_add_co_ci_u32_e32 v7, vcc_lo, 0, v8, vcc_lo
	s_delay_alu instid0(VALU_DEP_2) | instskip(SKIP_1) | instid1(VALU_DEP_2)
	v_add_co_u32 v4, vcc_lo, v4, v10
	s_wait_alu 0xfffd
	v_add_co_ci_u32_e32 v4, vcc_lo, v7, v11, vcc_lo
	s_wait_alu 0xfffd
	v_add_co_ci_u32_e32 v7, vcc_lo, 0, v13, vcc_lo
	s_delay_alu instid0(VALU_DEP_2) | instskip(SKIP_1) | instid1(VALU_DEP_2)
	v_add_co_u32 v4, vcc_lo, v4, v12
	s_wait_alu 0xfffd
	v_add_co_ci_u32_e32 v10, vcc_lo, 0, v7, vcc_lo
	s_delay_alu instid0(VALU_DEP_2) | instskip(SKIP_1) | instid1(VALU_DEP_3)
	v_mul_lo_u32 v11, s19, v4
	v_mad_co_u64_u32 v[7:8], null, s18, v4, 0
	v_mul_lo_u32 v12, s18, v10
	s_delay_alu instid0(VALU_DEP_2) | instskip(NEXT) | instid1(VALU_DEP_2)
	v_sub_co_u32 v7, vcc_lo, v5, v7
	v_add3_u32 v8, v8, v12, v11
	s_delay_alu instid0(VALU_DEP_1) | instskip(SKIP_1) | instid1(VALU_DEP_1)
	v_sub_nc_u32_e32 v11, v6, v8
	s_wait_alu 0xfffd
	v_subrev_co_ci_u32_e64 v11, s2, s19, v11, vcc_lo
	v_add_co_u32 v12, s2, v4, 2
	s_wait_alu 0xf1ff
	v_add_co_ci_u32_e64 v13, s2, 0, v10, s2
	v_sub_co_u32 v14, s2, v7, s18
	v_sub_co_ci_u32_e32 v8, vcc_lo, v6, v8, vcc_lo
	s_wait_alu 0xf1ff
	v_subrev_co_ci_u32_e64 v11, s2, 0, v11, s2
	s_delay_alu instid0(VALU_DEP_3) | instskip(NEXT) | instid1(VALU_DEP_3)
	v_cmp_le_u32_e32 vcc_lo, s18, v14
	v_cmp_eq_u32_e64 s2, s19, v8
	s_wait_alu 0xfffd
	v_cndmask_b32_e64 v14, 0, -1, vcc_lo
	v_cmp_le_u32_e32 vcc_lo, s19, v11
	s_wait_alu 0xfffd
	v_cndmask_b32_e64 v15, 0, -1, vcc_lo
	v_cmp_le_u32_e32 vcc_lo, s18, v7
	;; [unrolled: 3-line block ×3, first 2 shown]
	s_wait_alu 0xfffd
	v_cndmask_b32_e64 v16, 0, -1, vcc_lo
	v_cmp_eq_u32_e32 vcc_lo, s19, v11
	s_wait_alu 0xf1ff
	s_delay_alu instid0(VALU_DEP_2)
	v_cndmask_b32_e64 v7, v16, v7, s2
	s_wait_alu 0xfffd
	v_cndmask_b32_e32 v11, v15, v14, vcc_lo
	v_add_co_u32 v14, vcc_lo, v4, 1
	s_wait_alu 0xfffd
	v_add_co_ci_u32_e32 v15, vcc_lo, 0, v10, vcc_lo
	s_delay_alu instid0(VALU_DEP_3) | instskip(SKIP_1) | instid1(VALU_DEP_2)
	v_cmp_ne_u32_e32 vcc_lo, 0, v11
	s_wait_alu 0xfffd
	v_dual_cndmask_b32 v8, v15, v13 :: v_dual_cndmask_b32 v11, v14, v12
	v_cmp_ne_u32_e32 vcc_lo, 0, v7
	s_wait_alu 0xfffd
	s_delay_alu instid0(VALU_DEP_2)
	v_dual_cndmask_b32 v8, v10, v8 :: v_dual_cndmask_b32 v7, v4, v11
.LBB0_4:                                ;   in Loop: Header=BB0_2 Depth=1
	s_wait_alu 0xfffe
	s_and_not1_saveexec_b32 s2, s20
	s_cbranch_execz .LBB0_6
; %bb.5:                                ;   in Loop: Header=BB0_2 Depth=1
	v_cvt_f32_u32_e32 v4, s18
	s_sub_co_i32 s20, 0, s18
	s_delay_alu instid0(VALU_DEP_1) | instskip(NEXT) | instid1(TRANS32_DEP_1)
	v_rcp_iflag_f32_e32 v4, v4
	v_mul_f32_e32 v4, 0x4f7ffffe, v4
	s_delay_alu instid0(VALU_DEP_1) | instskip(SKIP_1) | instid1(VALU_DEP_1)
	v_cvt_u32_f32_e32 v4, v4
	s_wait_alu 0xfffe
	v_mul_lo_u32 v7, s20, v4
	s_delay_alu instid0(VALU_DEP_1) | instskip(NEXT) | instid1(VALU_DEP_1)
	v_mul_hi_u32 v7, v4, v7
	v_add_nc_u32_e32 v4, v4, v7
	s_delay_alu instid0(VALU_DEP_1) | instskip(NEXT) | instid1(VALU_DEP_1)
	v_mul_hi_u32 v4, v5, v4
	v_mul_lo_u32 v7, v4, s18
	v_add_nc_u32_e32 v8, 1, v4
	s_delay_alu instid0(VALU_DEP_2) | instskip(NEXT) | instid1(VALU_DEP_1)
	v_sub_nc_u32_e32 v7, v5, v7
	v_subrev_nc_u32_e32 v10, s18, v7
	v_cmp_le_u32_e32 vcc_lo, s18, v7
	s_wait_alu 0xfffd
	s_delay_alu instid0(VALU_DEP_2) | instskip(NEXT) | instid1(VALU_DEP_1)
	v_dual_cndmask_b32 v7, v7, v10 :: v_dual_cndmask_b32 v4, v4, v8
	v_cmp_le_u32_e32 vcc_lo, s18, v7
	s_delay_alu instid0(VALU_DEP_2) | instskip(SKIP_1) | instid1(VALU_DEP_1)
	v_add_nc_u32_e32 v8, 1, v4
	s_wait_alu 0xfffd
	v_dual_cndmask_b32 v7, v4, v8 :: v_dual_mov_b32 v8, v3
.LBB0_6:                                ;   in Loop: Header=BB0_2 Depth=1
	s_wait_alu 0xfffe
	s_or_b32 exec_lo, exec_lo, s2
	s_load_b64 s[20:21], s[12:13], 0x0
	s_delay_alu instid0(VALU_DEP_1)
	v_mul_lo_u32 v4, v8, s18
	v_mul_lo_u32 v12, v7, s19
	v_mad_co_u64_u32 v[10:11], null, v7, s18, 0
	s_add_nc_u64 s[14:15], s[14:15], 1
	s_add_nc_u64 s[12:13], s[12:13], 8
	s_wait_alu 0xfffe
	v_cmp_ge_u64_e64 s2, s[14:15], s[6:7]
	s_add_nc_u64 s[16:17], s[16:17], 8
	s_delay_alu instid0(VALU_DEP_2) | instskip(NEXT) | instid1(VALU_DEP_3)
	v_add3_u32 v4, v11, v12, v4
	v_sub_co_u32 v5, vcc_lo, v5, v10
	s_wait_alu 0xfffd
	s_delay_alu instid0(VALU_DEP_2) | instskip(SKIP_3) | instid1(VALU_DEP_2)
	v_sub_co_ci_u32_e32 v4, vcc_lo, v6, v4, vcc_lo
	s_and_b32 vcc_lo, exec_lo, s2
	s_wait_kmcnt 0x0
	v_mul_lo_u32 v6, s21, v5
	v_mul_lo_u32 v4, s20, v4
	v_mad_co_u64_u32 v[1:2], null, s20, v5, v[1:2]
	s_delay_alu instid0(VALU_DEP_1)
	v_add3_u32 v2, v6, v2, v4
	s_wait_alu 0xfffe
	s_cbranch_vccnz .LBB0_9
; %bb.7:                                ;   in Loop: Header=BB0_2 Depth=1
	v_dual_mov_b32 v5, v7 :: v_dual_mov_b32 v6, v8
	s_branch .LBB0_2
.LBB0_8:
	v_dual_mov_b32 v8, v6 :: v_dual_mov_b32 v7, v5
.LBB0_9:
	s_lshl_b64 s[2:3], s[6:7], 3
	v_mul_hi_u32 v4, 0x2e8ba2f, v0
	s_wait_alu 0xfffe
	s_add_nc_u64 s[2:3], s[10:11], s[2:3]
	s_load_b64 s[2:3], s[2:3], 0x0
	s_load_b64 s[0:1], s[0:1], 0x20
	s_delay_alu instid0(VALU_DEP_1) | instskip(NEXT) | instid1(VALU_DEP_1)
	v_mul_u32_u24_e32 v4, 0x58, v4
	v_sub_nc_u32_e32 v0, v0, v4
	s_delay_alu instid0(VALU_DEP_1)
	v_mov_b32_e32 v20, v0
	s_wait_kmcnt 0x0
	v_mad_co_u64_u32 v[2:3], null, s2, v7, v[1:2]
	v_and_b32_e32 v1, 1, v9
	v_mul_lo_u32 v5, s2, v8
	v_mul_lo_u32 v6, s3, v7
	s_delay_alu instid0(VALU_DEP_3) | instskip(SKIP_1) | instid1(VALU_DEP_3)
	v_cmp_eq_u32_e32 vcc_lo, 1, v1
	v_mov_b32_e32 v1, 0
	v_add3_u32 v3, v6, v3, v5
	s_wait_alu 0xfffd
	v_cndmask_b32_e64 v31, 0, 0x2c1, vcc_lo
	v_cmp_gt_u64_e32 vcc_lo, s[0:1], v[7:8]
	s_delay_alu instid0(VALU_DEP_3) | instskip(NEXT) | instid1(VALU_DEP_3)
	v_lshlrev_b64_e32 v[22:23], 3, v[2:3]
	v_lshlrev_b32_e32 v35, 3, v31
	s_and_saveexec_b32 s1, vcc_lo
	s_cbranch_execz .LBB0_13
; %bb.10:
	v_lshlrev_b64_e32 v[4:5], 3, v[0:1]
	s_delay_alu instid0(VALU_DEP_3) | instskip(SKIP_3) | instid1(VALU_DEP_2)
	v_add_co_u32 v2, s0, s8, v22
	s_wait_alu 0xf1ff
	v_add_co_ci_u32_e64 v3, s0, s9, v23, s0
	s_mov_b32 s2, exec_lo
	v_add_co_u32 v4, s0, v2, v4
	s_wait_alu 0xf1ff
	s_delay_alu instid0(VALU_DEP_2)
	v_add_co_ci_u32_e64 v5, s0, v3, v5, s0
	s_clause 0x7
	global_load_b64 v[7:8], v[4:5], off
	global_load_b64 v[9:10], v[4:5], off offset:704
	global_load_b64 v[11:12], v[4:5], off offset:1408
	;; [unrolled: 1-line block ×7, first 2 shown]
	v_lshlrev_b32_e32 v4, 3, v0
	s_delay_alu instid0(VALU_DEP_1) | instskip(SKIP_1) | instid1(VALU_DEP_2)
	v_add3_u32 v6, 0, v35, v4
	v_dual_mov_b32 v5, v1 :: v_dual_mov_b32 v4, v0
	v_add_nc_u32_e32 v26, 0x800, v6
	v_add_nc_u32_e32 v21, 0x400, v6
	;; [unrolled: 1-line block ×3, first 2 shown]
	s_wait_loadcnt 0x6
	ds_store_2addr_b64 v6, v[7:8], v[9:10] offset1:88
	s_wait_loadcnt 0x4
	ds_store_2addr_b64 v21, v[11:12], v[13:14] offset0:48 offset1:136
	s_wait_loadcnt 0x2
	ds_store_2addr_b64 v26, v[15:16], v[17:18] offset0:96 offset1:184
	;; [unrolled: 2-line block ×3, first 2 shown]
	v_cmpx_eq_u32_e32 0x57, v0
	s_cbranch_execz .LBB0_12
; %bb.11:
	global_load_b64 v[1:2], v[2:3], off offset:5632
	v_mov_b32_e32 v4, 0x57
	v_dual_mov_b32 v5, 0 :: v_dual_mov_b32 v0, 0x57
	s_wait_loadcnt 0x0
	ds_store_b64 v6, v[1:2] offset:4936
.LBB0_12:
	s_wait_alu 0xfffe
	s_or_b32 exec_lo, exec_lo, s2
	v_mov_b32_e32 v20, v0
	v_dual_mov_b32 v0, v4 :: v_dual_mov_b32 v1, v5
.LBB0_13:
	s_wait_alu 0xfffe
	s_or_b32 exec_lo, exec_lo, s1
	v_lshl_add_u32 v30, v31, 3, 0
	v_lshlrev_b32_e32 v33, 3, v20
	global_wb scope:SCOPE_SE
	s_wait_dscnt 0x0
	s_barrier_signal -1
	s_barrier_wait -1
	global_inv scope:SCOPE_SE
	v_add_nc_u32_e32 v32, v30, v33
	v_sub_nc_u32_e32 v2, v30, v33
	v_lshlrev_b64_e32 v[24:25], 3, v[0:1]
	s_mov_b32 s1, exec_lo
	ds_load_b32 v3, v32
	ds_load_b32 v4, v2 offset:5632
	s_wait_dscnt 0x0
	v_dual_sub_f32 v1, v3, v4 :: v_dual_add_f32 v0, v4, v3
	v_cmpx_ne_u32_e32 0, v20
	s_wait_alu 0xfffe
	s_xor_b32 s1, exec_lo, s1
	s_cbranch_execz .LBB0_15
; %bb.14:
	v_add_co_u32 v0, s0, s4, v24
	s_wait_alu 0xf1ff
	v_add_co_ci_u32_e64 v1, s0, s5, v25, s0
	v_dual_add_f32 v7, v4, v3 :: v_dual_sub_f32 v8, v3, v4
	global_load_b64 v[5:6], v[0:1], off offset:5616
	ds_load_b32 v0, v2 offset:5636
	ds_load_b32 v1, v32 offset:4
	s_wait_dscnt 0x0
	v_dual_add_f32 v9, v0, v1 :: v_dual_sub_f32 v0, v1, v0
	s_wait_loadcnt 0x0
	v_fma_f32 v3, -v8, v6, v7
	s_delay_alu instid0(VALU_DEP_2) | instskip(SKIP_2) | instid1(VALU_DEP_4)
	v_fma_f32 v4, v9, v6, -v0
	v_fma_f32 v10, v8, v6, v7
	v_fma_f32 v1, v9, v6, v0
	v_fmac_f32_e32 v3, v5, v9
	s_delay_alu instid0(VALU_DEP_4) | instskip(NEXT) | instid1(VALU_DEP_4)
	v_fmac_f32_e32 v4, v8, v5
	v_fma_f32 v0, -v5, v9, v10
	s_delay_alu instid0(VALU_DEP_4)
	v_fmac_f32_e32 v1, v8, v5
	ds_store_b64 v2, v[3:4] offset:5632
.LBB0_15:
	s_wait_alu 0xfffe
	s_and_not1_saveexec_b32 s0, s1
	s_cbranch_execz .LBB0_17
; %bb.16:
	ds_load_b64 v[3:4], v30 offset:2816
	s_wait_dscnt 0x0
	v_dual_add_f32 v3, v3, v3 :: v_dual_mul_f32 v4, -2.0, v4
	ds_store_b64 v30, v[3:4] offset:2816
.LBB0_17:
	s_wait_alu 0xfffe
	s_or_b32 exec_lo, exec_lo, s0
	v_mov_b32_e32 v21, 0
	s_add_nc_u64 s[0:1], s[4:5], 0x15f0
	v_add_nc_u32_e32 v29, 0x108, v20
	v_and_b32_e32 v36, 1, v20
	v_add_nc_u32_e32 v28, 0xb0, v20
	v_lshlrev_b64_e32 v[26:27], 3, v[20:21]
	s_delay_alu instid0(VALU_DEP_2) | instskip(SKIP_1) | instid1(VALU_DEP_2)
	v_lshlrev_b32_e32 v37, 4, v28
	s_wait_alu 0xfffe
	v_add_co_u32 v3, s0, s0, v26
	s_wait_alu 0xf1ff
	s_delay_alu instid0(VALU_DEP_3)
	v_add_co_ci_u32_e64 v4, s0, s1, v27, s0
	s_clause 0x2
	global_load_b64 v[5:6], v[3:4], off offset:704
	global_load_b64 v[7:8], v[3:4], off offset:1408
	;; [unrolled: 1-line block ×3, first 2 shown]
	ds_store_b64 v32, v[0:1]
	ds_load_b64 v[0:1], v32 offset:704
	ds_load_b64 v[9:10], v2 offset:4928
	v_cmp_gt_u32_e64 s0, 64, v20
	v_add3_u32 v37, 0, v37, v35
	s_wait_dscnt 0x0
	v_add_f32_e32 v11, v0, v9
	v_add_f32_e32 v12, v10, v1
	v_dual_sub_f32 v13, v0, v9 :: v_dual_sub_f32 v0, v1, v10
	s_wait_loadcnt 0x2
	s_delay_alu instid0(VALU_DEP_1) | instskip(NEXT) | instid1(VALU_DEP_2)
	v_fma_f32 v14, v13, v6, v11
	v_fma_f32 v1, v12, v6, v0
	v_fma_f32 v9, -v13, v6, v11
	v_fma_f32 v10, v12, v6, -v0
	s_delay_alu instid0(VALU_DEP_4) | instskip(NEXT) | instid1(VALU_DEP_4)
	v_fma_f32 v0, -v5, v12, v14
	v_fmac_f32_e32 v1, v13, v5
	s_delay_alu instid0(VALU_DEP_4) | instskip(NEXT) | instid1(VALU_DEP_4)
	v_fmac_f32_e32 v9, v5, v12
	v_fmac_f32_e32 v10, v13, v5
	ds_store_b64 v32, v[0:1] offset:704
	ds_store_b64 v2, v[9:10] offset:4928
	ds_load_b64 v[0:1], v32 offset:1408
	ds_load_b64 v[5:6], v2 offset:4224
	s_wait_dscnt 0x0
	v_add_f32_e32 v9, v0, v5
	v_add_f32_e32 v10, v6, v1
	v_dual_sub_f32 v11, v0, v5 :: v_dual_sub_f32 v0, v1, v6
	s_wait_loadcnt 0x1
	s_delay_alu instid0(VALU_DEP_1) | instskip(NEXT) | instid1(VALU_DEP_2)
	v_fma_f32 v12, v11, v8, v9
	v_fma_f32 v1, v10, v8, v0
	v_fma_f32 v5, -v11, v8, v9
	v_fma_f32 v6, v10, v8, -v0
	s_delay_alu instid0(VALU_DEP_4) | instskip(NEXT) | instid1(VALU_DEP_4)
	v_fma_f32 v0, -v7, v10, v12
	v_fmac_f32_e32 v1, v11, v7
	s_delay_alu instid0(VALU_DEP_4) | instskip(NEXT) | instid1(VALU_DEP_4)
	v_fmac_f32_e32 v5, v7, v10
	v_fmac_f32_e32 v6, v11, v7
	ds_store_b64 v32, v[0:1] offset:1408
	ds_store_b64 v2, v[5:6] offset:4224
	ds_load_b64 v[0:1], v32 offset:2112
	ds_load_b64 v[5:6], v2 offset:3520
	s_wait_dscnt 0x0
	v_add_f32_e32 v8, v6, v1
	v_add_f32_e32 v7, v0, v5
	v_dual_sub_f32 v9, v0, v5 :: v_dual_sub_f32 v0, v1, v6
	s_wait_loadcnt 0x0
	s_delay_alu instid0(VALU_DEP_1) | instskip(NEXT) | instid1(VALU_DEP_2)
	v_fma_f32 v10, v9, v4, v7
	v_fma_f32 v1, v8, v4, v0
	v_add_nc_u32_e32 v16, 0, v33
	v_fma_f32 v5, -v9, v4, v7
	v_fma_f32 v6, v8, v4, -v0
	v_fma_f32 v0, -v3, v8, v10
	v_fmac_f32_e32 v1, v9, v3
	v_add_nc_u32_e32 v21, v16, v35
	s_delay_alu instid0(VALU_DEP_4) | instskip(NEXT) | instid1(VALU_DEP_2)
	v_dual_fmac_f32 v5, v3, v8 :: v_dual_fmac_f32 v6, v9, v3
	v_add_nc_u32_e32 v18, 0x800, v21
	v_add_nc_u32_e32 v17, 0xc00, v21
	ds_store_b64 v32, v[0:1] offset:2112
	ds_store_b64 v2, v[5:6] offset:3520
	global_wb scope:SCOPE_SE
	s_wait_dscnt 0x0
	s_barrier_signal -1
	s_barrier_wait -1
	global_inv scope:SCOPE_SE
	global_wb scope:SCOPE_SE
	s_barrier_signal -1
	s_barrier_wait -1
	global_inv scope:SCOPE_SE
	ds_load_2addr_b64 v[0:3], v18 offset0:8 offset1:96
	ds_load_b64 v[12:13], v32
	ds_load_2addr_b64 v[4:7], v21 offset0:88 offset1:176
	ds_load_2addr_b64 v[8:11], v17 offset0:56 offset1:144
	v_add_nc_u32_e32 v34, v16, v33
	v_lshlrev_b32_e32 v38, 4, v29
	s_wait_dscnt 0x2
	v_dual_sub_f32 v2, v12, v2 :: v_dual_sub_f32 v3, v13, v3
	s_wait_dscnt 0x0
	v_dual_sub_f32 v11, v7, v11 :: v_dual_sub_f32 v10, v6, v10
	ds_load_b64 v[14:15], v21 offset:4928
	v_add_nc_u32_e32 v19, 0x58, v20
	v_dual_sub_f32 v8, v4, v8 :: v_dual_sub_f32 v9, v5, v9
	v_add_nc_u32_e32 v40, v34, v35
	v_fma_f32 v12, v12, 2.0, -v2
	v_fma_f32 v13, v13, 2.0, -v3
	;; [unrolled: 1-line block ×5, first 2 shown]
	v_add3_u32 v38, 0, v38, v35
	global_wb scope:SCOPE_SE
	s_wait_dscnt 0x0
	s_barrier_signal -1
	s_barrier_wait -1
	global_inv scope:SCOPE_SE
	v_sub_f32_e32 v14, v0, v14
	v_lshlrev_b32_e32 v16, 4, v19
	v_sub_f32_e32 v15, v1, v15
	v_fma_f32 v4, v4, 2.0, -v8
	s_delay_alu instid0(VALU_DEP_4) | instskip(NEXT) | instid1(VALU_DEP_4)
	v_fma_f32 v0, v0, 2.0, -v14
	v_add3_u32 v16, 0, v16, v35
	s_delay_alu instid0(VALU_DEP_4)
	v_fma_f32 v1, v1, 2.0, -v15
	ds_store_2addr_b64 v40, v[12:13], v[2:3] offset1:1
	ds_store_2addr_b64 v16, v[4:5], v[8:9] offset1:1
	;; [unrolled: 1-line block ×4, first 2 shown]
	global_wb scope:SCOPE_SE
	s_wait_dscnt 0x0
	s_barrier_signal -1
	s_barrier_wait -1
	global_inv scope:SCOPE_SE
	ds_load_2addr_b64 v[0:3], v18 offset0:8 offset1:96
	v_lshlrev_b32_e32 v39, 3, v36
	ds_load_2addr_b64 v[4:7], v17 offset0:56 offset1:144
	global_load_b64 v[12:13], v39, s[4:5]
	ds_load_b64 v[14:15], v32
	ds_load_b64 v[16:17], v21 offset:4928
	v_lshlrev_b32_e32 v19, 1, v19
	v_lshlrev_b32_e32 v28, 1, v28
	s_wait_loadcnt_dscnt 0x3
	v_dual_mul_f32 v43, v13, v3 :: v_dual_and_b32 v38, 3, v20
	v_mul_f32_e32 v44, v13, v2
	s_wait_dscnt 0x2
	v_mul_f32_e32 v46, v13, v4
	v_dual_mul_f32 v48, v13, v6 :: v_dual_lshlrev_b32 v37, 1, v20
	v_lshlrev_b32_e32 v29, 1, v29
	v_and_or_b32 v9, 0x1fc, v19, v36
	v_mul_f32_e32 v45, v13, v5
	v_mul_f32_e32 v47, v13, v7
	v_fmac_f32_e32 v48, v12, v7
	v_and_or_b32 v10, 0x3fc, v28, v36
	v_and_or_b32 v11, 0x3fc, v29, v36
	v_fmac_f32_e32 v46, v12, v5
	v_and_or_b32 v8, 0xfc, v37, v36
	v_fma_f32 v2, v12, v2, -v43
	v_lshlrev_b32_e32 v9, 3, v9
	v_lshlrev_b32_e32 v10, 3, v10
	v_fma_f32 v4, v12, v4, -v45
	s_wait_dscnt 0x0
	v_dual_mul_f32 v49, v13, v17 :: v_dual_lshlrev_b32 v8, 3, v8
	v_lshlrev_b32_e32 v11, 3, v11
	v_mul_f32_e32 v17, v12, v17
	v_add3_u32 v41, 0, v10, v35
	s_delay_alu instid0(VALU_DEP_4)
	v_add3_u32 v39, 0, v8, v35
	v_sub_f32_e32 v2, v14, v2
	v_add3_u32 v40, 0, v9, v35
	v_add3_u32 v42, 0, v11, v35
	ds_load_2addr_b64 v[8:11], v21 offset0:88 offset1:176
	v_fmac_f32_e32 v44, v12, v3
	v_fma_f32 v6, v12, v6, -v47
	v_dual_fmac_f32 v17, v13, v16 :: v_dual_lshlrev_b32 v36, 3, v38
	v_fma_f32 v12, v12, v16, -v49
	s_delay_alu instid0(VALU_DEP_4)
	v_sub_f32_e32 v3, v15, v44
	v_fma_f32 v14, v14, 2.0, -v2
	global_wb scope:SCOPE_SE
	s_wait_dscnt 0x0
	v_dual_sub_f32 v13, v1, v17 :: v_dual_sub_f32 v12, v0, v12
	s_barrier_signal -1
	s_barrier_wait -1
	global_inv scope:SCOPE_SE
	v_fma_f32 v1, v1, 2.0, -v13
	v_fma_f32 v0, v0, 2.0, -v12
	v_dual_sub_f32 v4, v8, v4 :: v_dual_sub_f32 v5, v9, v46
	v_dual_sub_f32 v6, v10, v6 :: v_dual_sub_f32 v7, v11, v48
	v_fma_f32 v15, v15, 2.0, -v3
	s_delay_alu instid0(VALU_DEP_3) | instskip(NEXT) | instid1(VALU_DEP_4)
	v_fma_f32 v8, v8, 2.0, -v4
	v_fma_f32 v9, v9, 2.0, -v5
	s_delay_alu instid0(VALU_DEP_4)
	v_fma_f32 v10, v10, 2.0, -v6
	v_fma_f32 v11, v11, 2.0, -v7
	ds_store_2addr_b64 v39, v[14:15], v[2:3] offset1:2
	ds_store_2addr_b64 v40, v[8:9], v[4:5] offset1:2
	ds_store_2addr_b64 v41, v[10:11], v[6:7] offset1:2
	ds_store_2addr_b64 v42, v[0:1], v[12:13] offset1:2
	v_add_nc_u32_e32 v40, 0x1000, v21
	global_wb scope:SCOPE_SE
	s_wait_dscnt 0x0
	s_barrier_signal -1
	s_barrier_wait -1
	global_inv scope:SCOPE_SE
	global_load_b64 v[12:13], v36, s[4:5] offset:16
	v_and_or_b32 v4, 0xf8, v37, v38
	ds_load_2addr_b64 v[0:3], v18 offset0:96 offset1:184
	v_and_or_b32 v8, 0x1f8, v19, v38
	v_and_or_b32 v9, 0x3f8, v28, v38
	;; [unrolled: 1-line block ×3, first 2 shown]
	v_lshlrev_b32_e32 v11, 3, v4
	ds_load_2addr_b64 v[4:7], v40 offset0:16 offset1:104
	v_lshlrev_b32_e32 v8, 3, v8
	v_lshlrev_b32_e32 v9, 3, v9
	;; [unrolled: 1-line block ×3, first 2 shown]
	v_add_nc_u32_e32 v38, 0x400, v21
	v_and_b32_e32 v36, 7, v20
	s_wait_loadcnt_dscnt 0x1
	s_delay_alu instid0(VALU_DEP_1)
	v_dual_mul_f32 v46, v13, v1 :: v_dual_lshlrev_b32 v39, 3, v36
	v_mul_f32_e32 v47, v13, v0
	v_add3_u32 v44, 0, v10, v35
	v_mul_f32_e32 v48, v13, v3
	v_add3_u32 v41, 0, v11, v35
	;; [unrolled: 2-line block ×3, first 2 shown]
	s_wait_dscnt 0x0
	v_mul_f32_e32 v51, v13, v4
	v_mul_f32_e32 v52, v13, v7
	v_add3_u32 v43, 0, v9, v35
	ds_load_b64 v[14:15], v32
	ds_load_b64 v[16:17], v21 offset:704
	ds_load_b32 v45, v21 offset:708
	ds_load_2addr_b64 v[8:11], v38 offset0:48 offset1:136
	v_dual_mul_f32 v50, v13, v5 :: v_dual_mul_f32 v7, v12, v7
	v_fma_f32 v0, v12, v0, -v46
	v_fmac_f32_e32 v47, v12, v1
	v_fma_f32 v2, v12, v2, -v48
	v_fmac_f32_e32 v49, v12, v3
	v_fma_f32 v4, v12, v4, -v50
	v_fmac_f32_e32 v51, v12, v5
	v_fma_f32 v12, v12, v6, -v52
	v_fmac_f32_e32 v7, v13, v6
	global_wb scope:SCOPE_SE
	s_wait_dscnt 0x0
	s_barrier_signal -1
	s_barrier_wait -1
	global_inv scope:SCOPE_SE
	v_dual_sub_f32 v0, v14, v0 :: v_dual_sub_f32 v1, v15, v47
	v_sub_f32_e32 v2, v16, v2
	v_dual_sub_f32 v6, v10, v12 :: v_dual_sub_f32 v3, v17, v49
	v_dual_sub_f32 v4, v8, v4 :: v_dual_sub_f32 v5, v9, v51
	v_sub_f32_e32 v7, v11, v7
	v_fma_f32 v12, v14, 2.0, -v0
	v_fma_f32 v13, v15, 2.0, -v1
	;; [unrolled: 1-line block ×8, first 2 shown]
	ds_store_2addr_b64 v41, v[12:13], v[0:1] offset1:4
	ds_store_2addr_b64 v42, v[14:15], v[2:3] offset1:4
	;; [unrolled: 1-line block ×4, first 2 shown]
	global_wb scope:SCOPE_SE
	s_wait_dscnt 0x0
	s_barrier_signal -1
	s_barrier_wait -1
	global_inv scope:SCOPE_SE
	global_load_b64 v[8:9], v39, s[4:5] offset:48
	v_and_or_b32 v4, 0xf0, v37, v36
	ds_load_2addr_b64 v[0:3], v18 offset0:96 offset1:184
	v_and_or_b32 v10, 0x1f0, v19, v36
	v_and_or_b32 v11, 0x3f0, v28, v36
	;; [unrolled: 1-line block ×3, first 2 shown]
	v_lshlrev_b32_e32 v13, 3, v4
	ds_load_2addr_b64 v[4:7], v40 offset0:16 offset1:104
	v_lshlrev_b32_e32 v10, 3, v10
	v_lshlrev_b32_e32 v11, 3, v11
	;; [unrolled: 1-line block ×3, first 2 shown]
	s_delay_alu instid0(VALU_DEP_3) | instskip(NEXT) | instid1(VALU_DEP_3)
	v_add3_u32 v37, 0, v10, v35
	v_add3_u32 v39, 0, v11, v35
	ds_load_b64 v[10:11], v32
	ds_load_b64 v[18:19], v21 offset:704
	ds_load_b32 v41, v21 offset:708
	ds_load_2addr_b64 v[14:17], v38 offset0:48 offset1:136
	v_add3_u32 v40, 0, v12, v35
	global_wb scope:SCOPE_SE
	s_wait_loadcnt_dscnt 0x0
	s_barrier_signal -1
	s_barrier_wait -1
	global_inv scope:SCOPE_SE
	v_mul_f32_e32 v38, v9, v5
	v_mul_f32_e32 v12, v9, v1
	;; [unrolled: 1-line block ×3, first 2 shown]
	v_add3_u32 v36, 0, v13, v35
	v_mul_f32_e32 v42, v9, v4
	v_mul_f32_e32 v43, v9, v7
	;; [unrolled: 1-line block ×4, first 2 shown]
	v_fma_f32 v0, v8, v0, -v12
	v_fmac_f32_e32 v42, v8, v5
	s_delay_alu instid0(VALU_DEP_3) | instskip(SKIP_3) | instid1(VALU_DEP_4)
	v_fmac_f32_e32 v13, v8, v1
	v_fma_f32 v1, v8, v2, -v28
	v_mul_f32_e32 v29, v9, v2
	v_fma_f32 v2, v8, v4, -v38
	v_dual_sub_f32 v4, v10, v0 :: v_dual_sub_f32 v5, v11, v13
	s_delay_alu instid0(VALU_DEP_3) | instskip(SKIP_4) | instid1(VALU_DEP_4)
	v_dual_sub_f32 v0, v18, v1 :: v_dual_fmac_f32 v29, v8, v3
	v_fma_f32 v3, v8, v6, -v43
	v_fmac_f32_e32 v7, v9, v6
	v_sub_f32_e32 v8, v14, v2
	v_sub_f32_e32 v9, v15, v42
	v_dual_sub_f32 v1, v19, v29 :: v_dual_sub_f32 v12, v16, v3
	s_delay_alu instid0(VALU_DEP_4)
	v_sub_f32_e32 v13, v17, v7
	v_fma_f32 v28, v10, 2.0, -v4
	v_fma_f32 v29, v11, 2.0, -v5
	;; [unrolled: 1-line block ×8, first 2 shown]
	ds_store_2addr_b64 v36, v[28:29], v[4:5] offset1:8
	ds_store_2addr_b64 v37, v[6:7], v[0:1] offset1:8
	;; [unrolled: 1-line block ×4, first 2 shown]
	global_wb scope:SCOPE_SE
	s_wait_dscnt 0x0
	s_barrier_signal -1
	s_barrier_wait -1
	global_inv scope:SCOPE_SE
                                        ; implicit-def: $vgpr19
	s_and_saveexec_b32 s1, s0
	s_cbranch_execz .LBB0_19
; %bb.18:
	ds_load_b64 v[28:29], v32
	ds_load_2addr_stride64_b64 v[4:7], v21 offset0:1 offset1:2
	ds_load_2addr_stride64_b64 v[0:3], v21 offset0:3 offset1:4
	;; [unrolled: 1-line block ×5, first 2 shown]
.LBB0_19:
	s_wait_alu 0xfffe
	s_or_b32 exec_lo, exec_lo, s1
	global_wb scope:SCOPE_SE
	s_wait_dscnt 0x0
	s_barrier_signal -1
	s_barrier_wait -1
	global_inv scope:SCOPE_SE
	s_and_saveexec_b32 s1, s0
	s_cbranch_execz .LBB0_21
; %bb.20:
	v_and_b32_e32 v36, 15, v20
	s_delay_alu instid0(VALU_DEP_1) | instskip(NEXT) | instid1(VALU_DEP_1)
	v_mul_u32_u24_e32 v37, 10, v36
	v_lshlrev_b32_e32 v37, 3, v37
	s_clause 0x4
	global_load_b128 v[43:46], v37, s[4:5] offset:176
	global_load_b128 v[47:50], v37, s[4:5] offset:112
	;; [unrolled: 1-line block ×5, first 2 shown]
	v_lshrrev_b32_e32 v37, 4, v20
	s_delay_alu instid0(VALU_DEP_1)
	v_mul_u32_u24_e32 v37, 0xb0, v37
	s_wait_loadcnt 0x2
	v_dual_mul_f32 v63, v4, v48 :: v_dual_mul_f32 v38, v14, v54
	v_dual_mul_f32 v39, v12, v52 :: v_dual_mul_f32 v54, v15, v54
	s_wait_loadcnt 0x0
	v_dual_mul_f32 v41, v8, v60 :: v_dual_mul_f32 v64, v6, v50
	v_dual_mul_f32 v50, v7, v50 :: v_dual_mul_f32 v65, v0, v56
	v_fmac_f32_e32 v63, v5, v47
	v_or_b32_e32 v36, v37, v36
	s_delay_alu instid0(VALU_DEP_4) | instskip(NEXT) | instid1(VALU_DEP_4)
	v_dual_mul_f32 v37, v16, v44 :: v_dual_fmac_f32 v64, v7, v49
	v_fma_f32 v7, v6, v49, -v50
	v_mul_f32_e32 v44, v17, v44
	s_delay_alu instid0(VALU_DEP_3) | instskip(SKIP_2) | instid1(VALU_DEP_3)
	v_dual_fmac_f32 v37, v17, v43 :: v_dual_lshlrev_b32 v36, 3, v36
	v_mul_f32_e32 v48, v5, v48
	v_dual_mul_f32 v42, v2, v58 :: v_dual_fmac_f32 v65, v1, v55
	v_add3_u32 v35, 0, v36, v35
	v_mul_f32_e32 v36, v18, v46
	v_mul_f32_e32 v46, v19, v46
	v_dual_mul_f32 v58, v3, v58 :: v_dual_fmac_f32 v39, v13, v51
	v_dual_mul_f32 v40, v10, v62 :: v_dual_fmac_f32 v41, v9, v59
	v_fma_f32 v5, v16, v43, -v44
	v_dual_fmac_f32 v36, v19, v45 :: v_dual_add_f32 v49, v29, v63
	s_delay_alu instid0(VALU_DEP_4)
	v_fma_f32 v6, v2, v57, -v58
	v_mul_f32_e32 v52, v13, v52
	v_fmac_f32_e32 v40, v11, v61
	v_mul_f32_e32 v62, v11, v62
	v_sub_f32_e32 v11, v7, v5
	v_fma_f32 v19, v4, v47, -v48
	v_fma_f32 v4, v18, v45, -v46
	v_add_f32_e32 v17, v41, v40
	v_mul_f32_e32 v56, v1, v56
	v_fma_f32 v1, v12, v51, -v52
	v_fma_f32 v2, v10, v61, -v62
	v_mul_f32_e32 v60, v9, v60
	v_dual_sub_f32 v9, v19, v4 :: v_dual_add_f32 v10, v64, v37
	v_fmac_f32_e32 v38, v15, v53
	v_dual_sub_f32 v16, v6, v1 :: v_dual_add_f32 v43, v19, v4
	v_add_f32_e32 v19, v28, v19
	v_fma_f32 v15, v0, v55, -v56
	v_dual_mul_f32 v55, 0x3f575c64, v10 :: v_dual_sub_f32 v46, v64, v37
	v_dual_mul_f32 v71, 0x3e903f40, v11 :: v_dual_sub_f32 v44, v63, v36
	v_fma_f32 v0, v14, v53, -v54
	v_add_f32_e32 v45, v7, v5
	s_delay_alu instid0(VALU_DEP_4) | instskip(SKIP_3) | instid1(VALU_DEP_4)
	v_dual_mul_f32 v69, 0x3f7d64f0, v46 :: v_dual_fmac_f32 v42, v3, v57
	v_fma_f32 v3, v8, v59, -v60
	v_mul_f32_e32 v59, 0xbe903f40, v44
	v_dual_add_f32 v8, v63, v36 :: v_dual_mul_f32 v61, 0xbf4178ce, v9
	v_dual_add_f32 v14, v42, v39 :: v_dual_add_f32 v47, v15, v0
	v_sub_f32_e32 v13, v15, v0
	v_sub_f32_e32 v18, v3, v2
	s_delay_alu instid0(VALU_DEP_4) | instskip(NEXT) | instid1(VALU_DEP_4)
	v_dual_mul_f32 v54, 0xbf75a155, v8 :: v_dual_add_f32 v7, v19, v7
	v_mul_f32_e32 v57, 0x3ed4b147, v14
	v_add_f32_e32 v12, v65, v38
	v_dual_sub_f32 v48, v65, v38 :: v_dual_mul_f32 v73, 0xbf0a6770, v16
	v_dual_sub_f32 v50, v42, v39 :: v_dual_mul_f32 v75, 0xbf7d64f0, v44
	s_delay_alu instid0(VALU_DEP_3)
	v_mul_f32_e32 v56, 0xbf27a4f4, v12
	v_dual_mul_f32 v58, 0xbe11bafb, v17 :: v_dual_add_f32 v49, v49, v64
	v_mul_f32_e32 v60, 0x3f0a6770, v46
	v_mul_f32_e32 v63, 0xbf0a6770, v13
	;; [unrolled: 1-line block ×4, first 2 shown]
	v_add_f32_e32 v49, v49, v65
	v_dual_sub_f32 v52, v41, v40 :: v_dual_mul_f32 v77, 0xbf68dda4, v9
	v_dual_mul_f32 v68, 0xbf4178ce, v44 :: v_dual_mul_f32 v83, 0xbf4178ce, v46
	s_delay_alu instid0(VALU_DEP_2)
	v_dual_mul_f32 v70, 0xbf7d64f0, v9 :: v_dual_mul_f32 v95, 0xbf7d64f0, v52
	v_dual_mul_f32 v76, 0x3e903f40, v46 :: v_dual_mul_f32 v79, 0x3e903f40, v13
	;; [unrolled: 1-line block ×3, first 2 shown]
	v_dual_mul_f32 v90, 0x3e903f40, v48 :: v_dual_fmamk_f32 v99, v9, 0x3e903f40, v54
	v_fma_f32 v107, 0xbe11bafb, v45, -v69
	v_fmac_f32_e32 v54, 0xbe903f40, v9
	v_fma_f32 v9, 0xbf75a155, v43, -v59
	v_dual_mul_f32 v62, 0x3f7d64f0, v11 :: v_dual_fmamk_f32 v103, v18, 0x3f7d64f0, v58
	v_dual_mul_f32 v72, 0x3f68dda4, v13 :: v_dual_mul_f32 v89, 0x3f68dda4, v48
	v_dual_mul_f32 v74, 0xbf4178ce, v18 :: v_dual_mul_f32 v87, 0xbf4178ce, v16
	;; [unrolled: 1-line block ×3, first 2 shown]
	v_dual_mul_f32 v80, 0x3f7d64f0, v16 :: v_dual_add_f32 v7, v7, v15
	v_dual_mul_f32 v81, 0x3f0a6770, v18 :: v_dual_mul_f32 v98, 0x3f0a6770, v52
	v_dual_mul_f32 v82, 0xbf68dda4, v44 :: v_dual_mul_f32 v85, 0xbf68dda4, v11
	v_mul_f32_e32 v86, 0xbf7d64f0, v13
	v_dual_mul_f32 v44, 0xbf0a6770, v44 :: v_dual_add_f32 v9, v28, v9
	v_dual_fmamk_f32 v104, v43, 0xbf75a155, v59 :: v_dual_fmamk_f32 v59, v14, 0xbf75a155, v66
	v_mul_f32_e32 v88, 0xbe903f40, v18
	v_fma_f32 v106, 0xbf27a4f4, v43, -v68
	v_fmamk_f32 v101, v13, 0x3f4178ce, v56
	v_fma_f32 v114, 0xbf75a155, v45, -v76
	v_fmac_f32_e32 v56, 0xbf4178ce, v13
	v_fmamk_f32 v13, v8, 0xbf27a4f4, v61
	v_mul_f32_e32 v46, 0xbf68dda4, v46
	v_fmamk_f32 v115, v8, 0x3ed4b147, v77
	v_fma_f32 v77, 0x3ed4b147, v8, -v77
	v_fmamk_f32 v100, v11, 0xbf0a6770, v55
	v_fmac_f32_e32 v55, 0x3f0a6770, v11
	v_fma_f32 v11, 0x3f575c64, v45, -v60
	v_add_f32_e32 v51, v6, v1
	v_add_f32_e32 v77, v29, v77
	;; [unrolled: 1-line block ×3, first 2 shown]
	v_dual_mul_f32 v91, 0x3f68dda4, v50 :: v_dual_mul_f32 v96, 0x3f68dda4, v52
	v_mul_f32_e32 v97, 0xbf4178ce, v52
	v_fmamk_f32 v102, v16, 0xbf68dda4, v57
	v_fmamk_f32 v105, v45, 0x3f575c64, v60
	v_fmac_f32_e32 v57, 0x3f68dda4, v16
	v_fmac_f32_e32 v58, 0xbf7d64f0, v18
	v_fmamk_f32 v16, v10, 0xbe11bafb, v62
	v_fmamk_f32 v18, v12, 0x3f575c64, v63
	v_dual_fmamk_f32 v60, v17, 0x3ed4b147, v67 :: v_dual_add_f32 v9, v11, v9
	v_dual_fmamk_f32 v108, v8, 0xbe11bafb, v70 :: v_dual_fmac_f32 v69, 0xbe11bafb, v45
	v_dual_fmamk_f32 v109, v10, 0xbf75a155, v71 :: v_dual_fmac_f32 v76, 0xbf75a155, v45
	v_dual_fmamk_f32 v110, v12, 0x3ed4b147, v72 :: v_dual_fmamk_f32 v15, v10, 0x3ed4b147, v85
	v_dual_fmamk_f32 v111, v14, 0x3f575c64, v73 :: v_dual_fmamk_f32 v118, v8, 0x3f575c64, v84
	v_mul_f32_e32 v52, 0xbe903f40, v52
	v_fmamk_f32 v112, v17, 0xbf27a4f4, v74
	v_fma_f32 v113, 0xbe11bafb, v43, -v75
	v_fmamk_f32 v116, v10, 0xbf27a4f4, v78
	v_fma_f32 v117, 0x3ed4b147, v43, -v82
	v_fma_f32 v61, 0xbf27a4f4, v8, -v61
	v_mul_f32_e32 v92, 0xbe903f40, v50
	v_fma_f32 v70, 0xbe11bafb, v8, -v70
	v_fma_f32 v8, 0x3f575c64, v8, -v84
	v_fma_f32 v84, 0x3f575c64, v43, -v44
	v_dual_add_f32 v61, v29, v61 :: v_dual_fmac_f32 v68, 0xbf27a4f4, v43
	v_fmac_f32_e32 v75, 0xbe11bafb, v43
	v_mul_f32_e32 v94, 0x3f7d64f0, v50
	v_mul_f32_e32 v50, 0xbf4178ce, v50
	v_fmac_f32_e32 v82, 0x3ed4b147, v43
	v_mul_f32_e32 v64, 0xbf0a6770, v48
	v_mul_f32_e32 v48, 0xbf7d64f0, v48
	v_fmamk_f32 v119, v14, 0xbe11bafb, v80
	v_fmamk_f32 v120, v17, 0x3f575c64, v81
	v_fma_f32 v65, 0xbf27a4f4, v45, -v83
	v_fma_f32 v62, 0xbe11bafb, v10, -v62
	;; [unrolled: 1-line block ×5, first 2 shown]
	v_dual_fmamk_f32 v85, v12, 0xbe11bafb, v86 :: v_dual_add_f32 v70, v29, v70
	v_fma_f32 v63, 0x3f575c64, v12, -v63
	v_fma_f32 v72, 0x3ed4b147, v12, -v72
	;; [unrolled: 1-line block ×8, first 2 shown]
	v_fmac_f32_e32 v83, 0xbf27a4f4, v45
	v_dual_add_f32 v13, v29, v13 :: v_dual_fmac_f32 v44, 0x3f575c64, v43
	v_fmamk_f32 v43, v12, 0xbf75a155, v79
	v_fma_f32 v79, 0xbf75a155, v12, -v79
	v_fma_f32 v12, 0xbe11bafb, v12, -v86
	v_fmamk_f32 v86, v14, 0xbf27a4f4, v87
	v_fma_f32 v14, 0xbf27a4f4, v14, -v87
	v_fmamk_f32 v87, v17, 0xbf75a155, v88
	v_fma_f32 v88, 0xbf75a155, v17, -v88
	v_fma_f32 v17, 0x3ed4b147, v45, -v46
	v_fmac_f32_e32 v46, 0x3ed4b147, v45
	v_fmamk_f32 v45, v47, 0xbf27a4f4, v19
	v_fma_f32 v19, 0xbf27a4f4, v47, -v19
	v_fma_f32 v121, 0x3f575c64, v47, -v64
	;; [unrolled: 1-line block ×3, first 2 shown]
	v_fmac_f32_e32 v89, 0x3ed4b147, v47
	v_fma_f32 v123, 0xbf75a155, v47, -v90
	v_fmac_f32_e32 v90, 0xbf75a155, v47
	v_fma_f32 v124, 0xbe11bafb, v47, -v48
	;; [unrolled: 2-line block ×9, first 2 shown]
	v_add_f32_e32 v68, v28, v68
	v_add_f32_e32 v75, v28, v75
	v_fma_f32 v127, 0xbe11bafb, v51, -v94
	v_fmac_f32_e32 v94, 0xbe11bafb, v51
	v_dual_add_f32 v82, v28, v82 :: v_dual_add_f32 v9, v19, v9
	v_add_f32_e32 v84, v28, v84
	v_fmac_f32_e32 v64, 0x3f575c64, v47
	v_fmamk_f32 v47, v51, 0x3ed4b147, v91
	v_fma_f32 v91, 0x3ed4b147, v51, -v91
	v_fmamk_f32 v51, v53, 0xbe11bafb, v95
	v_fma_f32 v95, 0xbe11bafb, v53, -v95
	v_add_f32_e32 v6, v7, v6
	v_dual_fmac_f32 v52, 0xbf75a155, v53 :: v_dual_add_f32 v53, v29, v99
	v_add_f32_e32 v99, v28, v104
	v_add_f32_e32 v104, v28, v106
	;; [unrolled: 1-line block ×3, first 2 shown]
	v_dual_add_f32 v108, v28, v113 :: v_dual_add_f32 v113, v29, v115
	v_add_f32_e32 v115, v28, v117
	v_add_f32_e32 v117, v29, v118
	v_dual_add_f32 v8, v29, v8 :: v_dual_add_f32 v11, v16, v13
	v_dual_add_f32 v13, v107, v104 :: v_dual_add_f32 v54, v29, v54
	v_dual_add_f32 v29, v49, v42 :: v_dual_add_f32 v28, v28, v44
	s_delay_alu instid0(VALU_DEP_3)
	v_add_f32_e32 v11, v18, v11
	v_add_f32_e32 v7, v100, v53
	v_dual_add_f32 v53, v116, v113 :: v_dual_add_f32 v42, v105, v99
	v_add_f32_e32 v15, v15, v117
	v_dual_add_f32 v44, v55, v54 :: v_dual_add_f32 v29, v29, v41
	v_add_f32_e32 v13, v121, v13
	v_add_f32_e32 v3, v6, v3
	s_delay_alu instid0(VALU_DEP_4)
	v_add_f32_e32 v15, v85, v15
	v_add_f32_e32 v49, v114, v108
	;; [unrolled: 1-line block ×3, first 2 shown]
	v_dual_add_f32 v54, v65, v115 :: v_dual_add_f32 v55, v71, v70
	v_dual_add_f32 v61, v76, v75 :: v_dual_add_f32 v62, v78, v77
	v_add_f32_e32 v29, v29, v40
	v_add_f32_e32 v65, v83, v82
	;; [unrolled: 1-line block ×4, first 2 shown]
	v_dual_add_f32 v10, v46, v28 :: v_dual_add_f32 v9, v91, v9
	v_add_f32_e32 v7, v101, v7
	v_add_f32_e32 v41, v69, v68
	v_dual_add_f32 v19, v43, v53 :: v_dual_add_f32 v28, v45, v42
	v_dual_add_f32 v45, v90, v65 :: v_dual_add_f32 v42, v56, v44
	s_delay_alu instid0(VALU_DEP_4)
	v_dual_add_f32 v7, v102, v7 :: v_dual_add_f32 v2, v3, v2
	v_add_f32_e32 v13, v125, v13
	v_dual_add_f32 v16, v109, v106 :: v_dual_add_f32 v17, v124, v17
	v_add_f32_e32 v3, v63, v6
	;; [unrolled: 2-line block ×3, first 2 shown]
	v_dual_add_f32 v40, v72, v55 :: v_dual_add_f32 v41, v89, v61
	v_dual_add_f32 v8, v12, v8 :: v_dual_add_f32 v29, v29, v39
	;; [unrolled: 1-line block ×3, first 2 shown]
	v_add_f32_e32 v12, v47, v28
	v_dual_add_f32 v28, v57, v42 :: v_dual_add_f32 v45, v94, v45
	v_add_f32_e32 v39, v2, v1
	v_dual_add_f32 v16, v110, v16 :: v_dual_add_f32 v11, v59, v11
	v_dual_add_f32 v18, v122, v49 :: v_dual_add_f32 v19, v119, v19
	;; [unrolled: 1-line block ×5, first 2 shown]
	v_add_f32_e32 v28, v29, v38
	v_add_f32_e32 v0, v39, v0
	v_dual_add_f32 v16, v111, v16 :: v_dual_add_f32 v41, v93, v41
	v_add_f32_e32 v43, v92, v6
	v_dual_add_f32 v18, v126, v18 :: v_dual_add_f32 v1, v51, v12
	;; [unrolled: 2-line block ×3, first 2 shown]
	v_add_f32_e32 v46, v14, v8
	v_add_f32_e32 v8, v129, v13
	v_dual_add_f32 v14, v132, v17 :: v_dual_add_f32 v17, v67, v3
	v_add_f32_e32 v3, v28, v37
	v_add_f32_e32 v0, v0, v5
	v_dual_add_f32 v6, v95, v9 :: v_dual_add_f32 v9, v60, v11
	v_dual_add_f32 v11, v112, v16 :: v_dual_add_f32 v10, v130, v18
	v_add_f32_e32 v29, v81, v44
	v_dual_add_f32 v13, v120, v19 :: v_dual_add_f32 v12, v131, v42
	v_dual_add_f32 v19, v74, v40 :: v_dual_add_f32 v16, v96, v43
	v_add_f32_e32 v18, v97, v41
	v_dual_add_f32 v28, v98, v45 :: v_dual_add_f32 v5, v3, v36
	v_add_f32_e32 v4, v0, v4
	v_add_f32_e32 v38, v88, v46
	;; [unrolled: 1-line block ×3, first 2 shown]
	ds_store_2addr_b64 v35, v[12:13], v[10:11] offset0:32 offset1:48
	ds_store_2addr_b64 v35, v[8:9], v[6:7] offset0:64 offset1:80
	;; [unrolled: 1-line block ×4, first 2 shown]
	ds_store_2addr_b64 v35, v[4:5], v[14:15] offset1:16
	ds_store_b64 v35, v[37:38] offset:1280
.LBB0_21:
	s_wait_alu 0xfffe
	s_or_b32 exec_lo, exec_lo, s1
	v_add_co_u32 v12, s0, s4, v24
	s_wait_alu 0xf1ff
	v_add_co_ci_u32_e64 v13, s0, s5, v25, s0
	v_add_co_u32 v14, s0, s4, v26
	s_wait_alu 0xf1ff
	v_add_co_ci_u32_e64 v15, s0, s5, v27, s0
	global_wb scope:SCOPE_SE
	s_wait_dscnt 0x0
	s_barrier_signal -1
	s_barrier_wait -1
	global_inv scope:SCOPE_SE
	s_clause 0x1
	global_load_b64 v[16:17], v[12:13], off offset:1392
	global_load_b64 v[18:19], v[14:15], off offset:2096
	v_add_nc_u32_e32 v28, 0x800, v21
	v_add_nc_u32_e32 v29, 0xc00, v21
	ds_load_2addr_b64 v[0:3], v28 offset0:8 offset1:96
	ds_load_2addr_b64 v[4:7], v29 offset0:56 offset1:144
	ds_load_b64 v[24:25], v21 offset:4928
	v_sub_nc_u32_e32 v33, v34, v33
	ds_load_b64 v[26:27], v32
	ds_load_2addr_b64 v[8:11], v21 offset0:88 offset1:176
	v_add_nc_u32_e32 v34, 0xa00, v21
	global_wb scope:SCOPE_SE
	s_wait_loadcnt_dscnt 0x0
	s_barrier_signal -1
	v_lshl_add_u32 v31, v31, 3, v33
	s_barrier_wait -1
	global_inv scope:SCOPE_SE
	v_add_nc_u32_e32 v33, 0x800, v31
	v_dual_mul_f32 v40, v17, v7 :: v_dual_mul_f32 v41, v19, v25
	v_dual_mul_f32 v39, v19, v4 :: v_dual_mul_f32 v36, v17, v3
	v_dual_mul_f32 v37, v17, v2 :: v_dual_mul_f32 v38, v19, v5
	s_delay_alu instid0(VALU_DEP_2) | instskip(NEXT) | instid1(VALU_DEP_4)
	v_fmac_f32_e32 v39, v18, v5
	v_fma_f32 v5, v16, v6, -v40
	v_mul_f32_e32 v17, v17, v6
	v_mul_f32_e32 v19, v19, v24
	v_fma_f32 v2, v16, v2, -v36
	v_fmac_f32_e32 v37, v16, v3
	v_fma_f32 v4, v18, v4, -v38
	v_fmac_f32_e32 v17, v16, v7
	;; [unrolled: 2-line block ×3, first 2 shown]
	v_dual_sub_f32 v2, v26, v2 :: v_dual_add_nc_u32 v35, 0xc00, v31
	v_dual_sub_f32 v16, v8, v4 :: v_dual_add_nc_u32 v31, 0x1000, v31
	v_dual_sub_f32 v3, v27, v37 :: v_dual_sub_f32 v18, v9, v39
	v_sub_f32_e32 v4, v10, v5
	v_sub_f32_e32 v5, v11, v17
	;; [unrolled: 1-line block ×4, first 2 shown]
	v_fma_f32 v6, v26, 2.0, -v2
	v_fma_f32 v7, v27, 2.0, -v3
	;; [unrolled: 1-line block ×8, first 2 shown]
	ds_store_b64 v21, v[2:3] offset:1408
	ds_store_2addr_b64 v21, v[6:7], v[8:9] offset1:88
	ds_store_2addr_b32 v33, v16, v18 offset0:16 offset1:17
	ds_store_2addr_b64 v34, v[10:11], v[4:5] offset0:32 offset1:208
	ds_store_2addr_b32 v35, v0, v1 offset0:112 offset1:113
	ds_store_2addr_b32 v31, v17, v19 offset0:208 offset1:209
	global_wb scope:SCOPE_SE
	s_wait_dscnt 0x0
	s_barrier_signal -1
	s_barrier_wait -1
	global_inv scope:SCOPE_SE
	s_clause 0x3
	global_load_b64 v[12:13], v[12:13], off offset:2800
	global_load_b64 v[16:17], v[14:15], off offset:3504
	;; [unrolled: 1-line block ×4, first 2 shown]
	ds_load_2addr_b64 v[0:3], v28 offset0:8 offset1:96
	ds_load_2addr_b64 v[4:7], v29 offset0:56 offset1:144
	ds_load_b64 v[24:25], v21 offset:4928
	ds_load_b64 v[26:27], v32
	ds_load_2addr_b64 v[8:11], v21 offset0:88 offset1:176
	global_wb scope:SCOPE_SE
	s_wait_loadcnt_dscnt 0x0
	s_barrier_signal -1
	s_barrier_wait -1
	global_inv scope:SCOPE_SE
	v_mul_f32_e32 v28, v13, v3
	v_dual_mul_f32 v29, v17, v5 :: v_dual_mul_f32 v32, v19, v7
	v_mul_f32_e32 v19, v19, v6
	v_mul_f32_e32 v17, v17, v4
	;; [unrolled: 1-line block ×4, first 2 shown]
	v_fma_f32 v4, v16, v4, -v29
	v_fmac_f32_e32 v19, v18, v7
	v_mul_f32_e32 v13, v13, v2
	v_fma_f32 v2, v12, v2, -v28
	v_fmac_f32_e32 v17, v16, v5
	v_fma_f32 v5, v18, v6, -v32
	v_sub_f32_e32 v16, v11, v19
	v_fmac_f32_e32 v13, v12, v3
	v_fma_f32 v6, v14, v24, -v33
	v_fmac_f32_e32 v15, v14, v25
	v_sub_f32_e32 v2, v26, v2
	s_delay_alu instid0(VALU_DEP_4)
	v_dual_sub_f32 v12, v8, v4 :: v_dual_sub_f32 v3, v27, v13
	v_sub_f32_e32 v13, v9, v17
	v_dual_sub_f32 v14, v10, v5 :: v_dual_sub_f32 v17, v0, v6
	v_sub_f32_e32 v15, v1, v15
	v_fma_f32 v4, v26, 2.0, -v2
	v_fma_f32 v5, v27, 2.0, -v3
	;; [unrolled: 1-line block ×8, first 2 shown]
	ds_store_b64 v21, v[2:3] offset:2816
	ds_store_2addr_b64 v21, v[4:5], v[6:7] offset1:88
	ds_store_2addr_b32 v35, v12, v13 offset0:112 offset1:113
	ds_store_b64 v21, v[8:9] offset:1408
	ds_store_2addr_b32 v31, v14, v16 offset0:32 offset1:33
	ds_store_b64 v21, v[0:1] offset:2112
	ds_store_2addr_b32 v31, v17, v15 offset0:208 offset1:209
	global_wb scope:SCOPE_SE
	s_wait_dscnt 0x0
	s_barrier_signal -1
	s_barrier_wait -1
	global_inv scope:SCOPE_SE
	s_and_saveexec_b32 s0, vcc_lo
	s_cbranch_execz .LBB0_23
; %bb.22:
	v_dual_mov_b32 v21, 0 :: v_dual_add_nc_u32 v4, 0x58, v20
	v_lshl_add_u32 v30, v20, 3, v30
	v_add_co_u32 v32, vcc_lo, s8, v22
	s_delay_alu instid0(VALU_DEP_3)
	v_dual_mov_b32 v5, v21 :: v_dual_add_nc_u32 v8, 0xb0, v20
	v_lshlrev_b64_e32 v[6:7], 3, v[20:21]
	v_mov_b32_e32 v9, v21
	s_wait_alu 0xfffd
	v_add_co_ci_u32_e32 v33, vcc_lo, s9, v23, vcc_lo
	v_lshlrev_b64_e32 v[4:5], 3, v[4:5]
	v_dual_mov_b32 v11, v21 :: v_dual_add_nc_u32 v10, 0x108, v20
	v_add_co_u32 v16, vcc_lo, v32, v6
	v_add_nc_u32_e32 v6, 0x400, v30
	v_lshlrev_b64_e32 v[8:9], 3, v[8:9]
	s_wait_alu 0xfffd
	v_add_co_ci_u32_e32 v17, vcc_lo, v33, v7, vcc_lo
	v_add_co_u32 v18, vcc_lo, v32, v4
	s_wait_alu 0xfffd
	v_add_co_ci_u32_e32 v19, vcc_lo, v33, v5, vcc_lo
	v_add_co_u32 v22, vcc_lo, v32, v8
	v_dual_mov_b32 v13, v21 :: v_dual_add_nc_u32 v12, 0x160, v20
	s_wait_alu 0xfffd
	v_add_co_ci_u32_e32 v23, vcc_lo, v33, v9, vcc_lo
	v_lshlrev_b64_e32 v[8:9], 3, v[10:11]
	v_dual_mov_b32 v15, v21 :: v_dual_add_nc_u32 v10, 0x800, v30
	v_dual_mov_b32 v29, v21 :: v_dual_add_nc_u32 v14, 0x1b8, v20
	v_lshlrev_b64_e32 v[12:13], 3, v[12:13]
	ds_load_2addr_b64 v[0:3], v30 offset1:88
	v_add_co_u32 v24, vcc_lo, v32, v8
	v_lshlrev_b64_e32 v[26:27], 3, v[14:15]
	v_add_nc_u32_e32 v14, 0x1000, v30
	ds_load_2addr_b64 v[4:7], v6 offset0:48 offset1:136
	s_wait_alu 0xfffd
	v_add_co_ci_u32_e32 v25, vcc_lo, v33, v9, vcc_lo
	ds_load_2addr_b64 v[8:11], v10 offset0:96 offset1:184
	v_add_nc_u32_e32 v28, 0x210, v20
	v_add_co_u32 v30, vcc_lo, v32, v12
	s_wait_alu 0xfffd
	v_add_co_ci_u32_e32 v31, vcc_lo, v33, v13, vcc_lo
	ds_load_2addr_b64 v[12:15], v14 offset0:16 offset1:104
	v_add_nc_u32_e32 v20, 0x268, v20
	v_lshlrev_b64_e32 v[28:29], 3, v[28:29]
	v_add_co_u32 v26, vcc_lo, v32, v26
	s_wait_alu 0xfffd
	v_add_co_ci_u32_e32 v27, vcc_lo, v33, v27, vcc_lo
	v_lshlrev_b64_e32 v[20:21], 3, v[20:21]
	s_delay_alu instid0(VALU_DEP_4) | instskip(SKIP_2) | instid1(VALU_DEP_3)
	v_add_co_u32 v28, vcc_lo, v32, v28
	s_wait_alu 0xfffd
	v_add_co_ci_u32_e32 v29, vcc_lo, v33, v29, vcc_lo
	v_add_co_u32 v20, vcc_lo, v32, v20
	s_wait_alu 0xfffd
	v_add_co_ci_u32_e32 v21, vcc_lo, v33, v21, vcc_lo
	s_wait_dscnt 0x3
	s_clause 0x1
	global_store_b64 v[16:17], v[0:1], off
	global_store_b64 v[18:19], v[2:3], off
	s_wait_dscnt 0x2
	s_clause 0x1
	global_store_b64 v[22:23], v[4:5], off
	global_store_b64 v[24:25], v[6:7], off
	;; [unrolled: 4-line block ×4, first 2 shown]
.LBB0_23:
	s_nop 0
	s_sendmsg sendmsg(MSG_DEALLOC_VGPRS)
	s_endpgm
	.section	.rodata,"a",@progbits
	.p2align	6, 0x0
	.amdhsa_kernel fft_rtc_fwd_len704_factors_2_2_2_2_11_2_2_wgs_176_tpt_88_halfLds_sp_ip_CI_unitstride_sbrr_C2R_dirReg
		.amdhsa_group_segment_fixed_size 0
		.amdhsa_private_segment_fixed_size 0
		.amdhsa_kernarg_size 88
		.amdhsa_user_sgpr_count 2
		.amdhsa_user_sgpr_dispatch_ptr 0
		.amdhsa_user_sgpr_queue_ptr 0
		.amdhsa_user_sgpr_kernarg_segment_ptr 1
		.amdhsa_user_sgpr_dispatch_id 0
		.amdhsa_user_sgpr_private_segment_size 0
		.amdhsa_wavefront_size32 1
		.amdhsa_uses_dynamic_stack 0
		.amdhsa_enable_private_segment 0
		.amdhsa_system_sgpr_workgroup_id_x 1
		.amdhsa_system_sgpr_workgroup_id_y 0
		.amdhsa_system_sgpr_workgroup_id_z 0
		.amdhsa_system_sgpr_workgroup_info 0
		.amdhsa_system_vgpr_workitem_id 0
		.amdhsa_next_free_vgpr 133
		.amdhsa_next_free_sgpr 32
		.amdhsa_reserve_vcc 1
		.amdhsa_float_round_mode_32 0
		.amdhsa_float_round_mode_16_64 0
		.amdhsa_float_denorm_mode_32 3
		.amdhsa_float_denorm_mode_16_64 3
		.amdhsa_fp16_overflow 0
		.amdhsa_workgroup_processor_mode 1
		.amdhsa_memory_ordered 1
		.amdhsa_forward_progress 0
		.amdhsa_round_robin_scheduling 0
		.amdhsa_exception_fp_ieee_invalid_op 0
		.amdhsa_exception_fp_denorm_src 0
		.amdhsa_exception_fp_ieee_div_zero 0
		.amdhsa_exception_fp_ieee_overflow 0
		.amdhsa_exception_fp_ieee_underflow 0
		.amdhsa_exception_fp_ieee_inexact 0
		.amdhsa_exception_int_div_zero 0
	.end_amdhsa_kernel
	.text
.Lfunc_end0:
	.size	fft_rtc_fwd_len704_factors_2_2_2_2_11_2_2_wgs_176_tpt_88_halfLds_sp_ip_CI_unitstride_sbrr_C2R_dirReg, .Lfunc_end0-fft_rtc_fwd_len704_factors_2_2_2_2_11_2_2_wgs_176_tpt_88_halfLds_sp_ip_CI_unitstride_sbrr_C2R_dirReg
                                        ; -- End function
	.section	.AMDGPU.csdata,"",@progbits
; Kernel info:
; codeLenInByte = 8032
; NumSgprs: 34
; NumVgprs: 133
; ScratchSize: 0
; MemoryBound: 0
; FloatMode: 240
; IeeeMode: 1
; LDSByteSize: 0 bytes/workgroup (compile time only)
; SGPRBlocks: 4
; VGPRBlocks: 16
; NumSGPRsForWavesPerEU: 34
; NumVGPRsForWavesPerEU: 133
; Occupancy: 10
; WaveLimiterHint : 1
; COMPUTE_PGM_RSRC2:SCRATCH_EN: 0
; COMPUTE_PGM_RSRC2:USER_SGPR: 2
; COMPUTE_PGM_RSRC2:TRAP_HANDLER: 0
; COMPUTE_PGM_RSRC2:TGID_X_EN: 1
; COMPUTE_PGM_RSRC2:TGID_Y_EN: 0
; COMPUTE_PGM_RSRC2:TGID_Z_EN: 0
; COMPUTE_PGM_RSRC2:TIDIG_COMP_CNT: 0
	.text
	.p2alignl 7, 3214868480
	.fill 96, 4, 3214868480
	.type	__hip_cuid_d552843a22d24371,@object ; @__hip_cuid_d552843a22d24371
	.section	.bss,"aw",@nobits
	.globl	__hip_cuid_d552843a22d24371
__hip_cuid_d552843a22d24371:
	.byte	0                               ; 0x0
	.size	__hip_cuid_d552843a22d24371, 1

	.ident	"AMD clang version 19.0.0git (https://github.com/RadeonOpenCompute/llvm-project roc-6.4.0 25133 c7fe45cf4b819c5991fe208aaa96edf142730f1d)"
	.section	".note.GNU-stack","",@progbits
	.addrsig
	.addrsig_sym __hip_cuid_d552843a22d24371
	.amdgpu_metadata
---
amdhsa.kernels:
  - .args:
      - .actual_access:  read_only
        .address_space:  global
        .offset:         0
        .size:           8
        .value_kind:     global_buffer
      - .offset:         8
        .size:           8
        .value_kind:     by_value
      - .actual_access:  read_only
        .address_space:  global
        .offset:         16
        .size:           8
        .value_kind:     global_buffer
      - .actual_access:  read_only
        .address_space:  global
        .offset:         24
        .size:           8
        .value_kind:     global_buffer
      - .offset:         32
        .size:           8
        .value_kind:     by_value
      - .actual_access:  read_only
        .address_space:  global
        .offset:         40
        .size:           8
        .value_kind:     global_buffer
      - .actual_access:  read_only
        .address_space:  global
        .offset:         48
        .size:           8
        .value_kind:     global_buffer
      - .offset:         56
        .size:           4
        .value_kind:     by_value
      - .actual_access:  read_only
        .address_space:  global
        .offset:         64
        .size:           8
        .value_kind:     global_buffer
      - .actual_access:  read_only
        .address_space:  global
        .offset:         72
        .size:           8
        .value_kind:     global_buffer
      - .address_space:  global
        .offset:         80
        .size:           8
        .value_kind:     global_buffer
    .group_segment_fixed_size: 0
    .kernarg_segment_align: 8
    .kernarg_segment_size: 88
    .language:       OpenCL C
    .language_version:
      - 2
      - 0
    .max_flat_workgroup_size: 176
    .name:           fft_rtc_fwd_len704_factors_2_2_2_2_11_2_2_wgs_176_tpt_88_halfLds_sp_ip_CI_unitstride_sbrr_C2R_dirReg
    .private_segment_fixed_size: 0
    .sgpr_count:     34
    .sgpr_spill_count: 0
    .symbol:         fft_rtc_fwd_len704_factors_2_2_2_2_11_2_2_wgs_176_tpt_88_halfLds_sp_ip_CI_unitstride_sbrr_C2R_dirReg.kd
    .uniform_work_group_size: 1
    .uses_dynamic_stack: false
    .vgpr_count:     133
    .vgpr_spill_count: 0
    .wavefront_size: 32
    .workgroup_processor_mode: 1
amdhsa.target:   amdgcn-amd-amdhsa--gfx1201
amdhsa.version:
  - 1
  - 2
...

	.end_amdgpu_metadata
